;; amdgpu-corpus repo=ROCm/rocFFT kind=compiled arch=gfx1030 opt=O3
	.text
	.amdgcn_target "amdgcn-amd-amdhsa--gfx1030"
	.amdhsa_code_object_version 6
	.protected	fft_rtc_back_len637_factors_13_7_7_wgs_91_tpt_91_halfLds_dp_ip_CI_unitstride_sbrr_dirReg ; -- Begin function fft_rtc_back_len637_factors_13_7_7_wgs_91_tpt_91_halfLds_dp_ip_CI_unitstride_sbrr_dirReg
	.globl	fft_rtc_back_len637_factors_13_7_7_wgs_91_tpt_91_halfLds_dp_ip_CI_unitstride_sbrr_dirReg
	.p2align	8
	.type	fft_rtc_back_len637_factors_13_7_7_wgs_91_tpt_91_halfLds_dp_ip_CI_unitstride_sbrr_dirReg,@function
fft_rtc_back_len637_factors_13_7_7_wgs_91_tpt_91_halfLds_dp_ip_CI_unitstride_sbrr_dirReg: ; @fft_rtc_back_len637_factors_13_7_7_wgs_91_tpt_91_halfLds_dp_ip_CI_unitstride_sbrr_dirReg
; %bb.0:
	s_clause 0x2
	s_load_dwordx4 s[8:11], s[4:5], 0x0
	s_load_dwordx2 s[2:3], s[4:5], 0x50
	s_load_dwordx2 s[12:13], s[4:5], 0x18
	v_mul_u32_u24_e32 v1, 0x2d1, v0
	v_mov_b32_e32 v3, 0
	v_add_nc_u32_sdwa v5, s6, v1 dst_sel:DWORD dst_unused:UNUSED_PAD src0_sel:DWORD src1_sel:WORD_1
	v_mov_b32_e32 v1, 0
	v_mov_b32_e32 v6, v3
	v_mov_b32_e32 v2, 0
	s_waitcnt lgkmcnt(0)
	v_cmp_lt_u64_e64 s0, s[10:11], 2
	s_and_b32 vcc_lo, exec_lo, s0
	s_cbranch_vccnz .LBB0_8
; %bb.1:
	s_load_dwordx2 s[0:1], s[4:5], 0x10
	v_mov_b32_e32 v1, 0
	s_add_u32 s6, s12, 8
	v_mov_b32_e32 v2, 0
	s_addc_u32 s7, s13, 0
	s_mov_b64 s[16:17], 1
	s_waitcnt lgkmcnt(0)
	s_add_u32 s14, s0, 8
	s_addc_u32 s15, s1, 0
.LBB0_2:                                ; =>This Inner Loop Header: Depth=1
	s_load_dwordx2 s[18:19], s[14:15], 0x0
                                        ; implicit-def: $vgpr7_vgpr8
	s_mov_b32 s0, exec_lo
	s_waitcnt lgkmcnt(0)
	v_or_b32_e32 v4, s19, v6
	v_cmpx_ne_u64_e32 0, v[3:4]
	s_xor_b32 s1, exec_lo, s0
	s_cbranch_execz .LBB0_4
; %bb.3:                                ;   in Loop: Header=BB0_2 Depth=1
	v_cvt_f32_u32_e32 v4, s18
	v_cvt_f32_u32_e32 v7, s19
	s_sub_u32 s0, 0, s18
	s_subb_u32 s20, 0, s19
	v_fmac_f32_e32 v4, 0x4f800000, v7
	v_rcp_f32_e32 v4, v4
	v_mul_f32_e32 v4, 0x5f7ffffc, v4
	v_mul_f32_e32 v7, 0x2f800000, v4
	v_trunc_f32_e32 v7, v7
	v_fmac_f32_e32 v4, 0xcf800000, v7
	v_cvt_u32_f32_e32 v7, v7
	v_cvt_u32_f32_e32 v4, v4
	v_mul_lo_u32 v8, s0, v7
	v_mul_hi_u32 v9, s0, v4
	v_mul_lo_u32 v10, s20, v4
	v_add_nc_u32_e32 v8, v9, v8
	v_mul_lo_u32 v9, s0, v4
	v_add_nc_u32_e32 v8, v8, v10
	v_mul_hi_u32 v10, v4, v9
	v_mul_lo_u32 v11, v4, v8
	v_mul_hi_u32 v12, v4, v8
	v_mul_hi_u32 v13, v7, v9
	v_mul_lo_u32 v9, v7, v9
	v_mul_hi_u32 v14, v7, v8
	v_mul_lo_u32 v8, v7, v8
	v_add_co_u32 v10, vcc_lo, v10, v11
	v_add_co_ci_u32_e32 v11, vcc_lo, 0, v12, vcc_lo
	v_add_co_u32 v9, vcc_lo, v10, v9
	v_add_co_ci_u32_e32 v9, vcc_lo, v11, v13, vcc_lo
	v_add_co_ci_u32_e32 v10, vcc_lo, 0, v14, vcc_lo
	v_add_co_u32 v8, vcc_lo, v9, v8
	v_add_co_ci_u32_e32 v9, vcc_lo, 0, v10, vcc_lo
	v_add_co_u32 v4, vcc_lo, v4, v8
	v_add_co_ci_u32_e32 v7, vcc_lo, v7, v9, vcc_lo
	v_mul_hi_u32 v8, s0, v4
	v_mul_lo_u32 v10, s20, v4
	v_mul_lo_u32 v9, s0, v7
	v_add_nc_u32_e32 v8, v8, v9
	v_mul_lo_u32 v9, s0, v4
	v_add_nc_u32_e32 v8, v8, v10
	v_mul_hi_u32 v10, v4, v9
	v_mul_lo_u32 v11, v4, v8
	v_mul_hi_u32 v12, v4, v8
	v_mul_hi_u32 v13, v7, v9
	v_mul_lo_u32 v9, v7, v9
	v_mul_hi_u32 v14, v7, v8
	v_mul_lo_u32 v8, v7, v8
	v_add_co_u32 v10, vcc_lo, v10, v11
	v_add_co_ci_u32_e32 v11, vcc_lo, 0, v12, vcc_lo
	v_add_co_u32 v9, vcc_lo, v10, v9
	v_add_co_ci_u32_e32 v9, vcc_lo, v11, v13, vcc_lo
	v_add_co_ci_u32_e32 v10, vcc_lo, 0, v14, vcc_lo
	v_add_co_u32 v8, vcc_lo, v9, v8
	v_add_co_ci_u32_e32 v9, vcc_lo, 0, v10, vcc_lo
	v_add_co_u32 v4, vcc_lo, v4, v8
	v_add_co_ci_u32_e32 v11, vcc_lo, v7, v9, vcc_lo
	v_mul_hi_u32 v13, v5, v4
	v_mad_u64_u32 v[9:10], null, v6, v4, 0
	v_mad_u64_u32 v[7:8], null, v5, v11, 0
	;; [unrolled: 1-line block ×3, first 2 shown]
	v_add_co_u32 v4, vcc_lo, v13, v7
	v_add_co_ci_u32_e32 v7, vcc_lo, 0, v8, vcc_lo
	v_add_co_u32 v4, vcc_lo, v4, v9
	v_add_co_ci_u32_e32 v4, vcc_lo, v7, v10, vcc_lo
	v_add_co_ci_u32_e32 v7, vcc_lo, 0, v12, vcc_lo
	v_add_co_u32 v4, vcc_lo, v4, v11
	v_add_co_ci_u32_e32 v9, vcc_lo, 0, v7, vcc_lo
	v_mul_lo_u32 v10, s19, v4
	v_mad_u64_u32 v[7:8], null, s18, v4, 0
	v_mul_lo_u32 v11, s18, v9
	v_sub_co_u32 v7, vcc_lo, v5, v7
	v_add3_u32 v8, v8, v11, v10
	v_sub_nc_u32_e32 v10, v6, v8
	v_subrev_co_ci_u32_e64 v10, s0, s19, v10, vcc_lo
	v_add_co_u32 v11, s0, v4, 2
	v_add_co_ci_u32_e64 v12, s0, 0, v9, s0
	v_sub_co_u32 v13, s0, v7, s18
	v_sub_co_ci_u32_e32 v8, vcc_lo, v6, v8, vcc_lo
	v_subrev_co_ci_u32_e64 v10, s0, 0, v10, s0
	v_cmp_le_u32_e32 vcc_lo, s18, v13
	v_cmp_eq_u32_e64 s0, s19, v8
	v_cndmask_b32_e64 v13, 0, -1, vcc_lo
	v_cmp_le_u32_e32 vcc_lo, s19, v10
	v_cndmask_b32_e64 v14, 0, -1, vcc_lo
	v_cmp_le_u32_e32 vcc_lo, s18, v7
	;; [unrolled: 2-line block ×3, first 2 shown]
	v_cndmask_b32_e64 v15, 0, -1, vcc_lo
	v_cmp_eq_u32_e32 vcc_lo, s19, v10
	v_cndmask_b32_e64 v7, v15, v7, s0
	v_cndmask_b32_e32 v10, v14, v13, vcc_lo
	v_add_co_u32 v13, vcc_lo, v4, 1
	v_add_co_ci_u32_e32 v14, vcc_lo, 0, v9, vcc_lo
	v_cmp_ne_u32_e32 vcc_lo, 0, v10
	v_cndmask_b32_e32 v8, v14, v12, vcc_lo
	v_cndmask_b32_e32 v10, v13, v11, vcc_lo
	v_cmp_ne_u32_e32 vcc_lo, 0, v7
	v_cndmask_b32_e32 v8, v9, v8, vcc_lo
	v_cndmask_b32_e32 v7, v4, v10, vcc_lo
.LBB0_4:                                ;   in Loop: Header=BB0_2 Depth=1
	s_andn2_saveexec_b32 s0, s1
	s_cbranch_execz .LBB0_6
; %bb.5:                                ;   in Loop: Header=BB0_2 Depth=1
	v_cvt_f32_u32_e32 v4, s18
	s_sub_i32 s1, 0, s18
	v_rcp_iflag_f32_e32 v4, v4
	v_mul_f32_e32 v4, 0x4f7ffffe, v4
	v_cvt_u32_f32_e32 v4, v4
	v_mul_lo_u32 v7, s1, v4
	v_mul_hi_u32 v7, v4, v7
	v_add_nc_u32_e32 v4, v4, v7
	v_mul_hi_u32 v4, v5, v4
	v_mul_lo_u32 v7, v4, s18
	v_add_nc_u32_e32 v8, 1, v4
	v_sub_nc_u32_e32 v7, v5, v7
	v_subrev_nc_u32_e32 v9, s18, v7
	v_cmp_le_u32_e32 vcc_lo, s18, v7
	v_cndmask_b32_e32 v7, v7, v9, vcc_lo
	v_cndmask_b32_e32 v4, v4, v8, vcc_lo
	v_cmp_le_u32_e32 vcc_lo, s18, v7
	v_add_nc_u32_e32 v8, 1, v4
	v_cndmask_b32_e32 v7, v4, v8, vcc_lo
	v_mov_b32_e32 v8, v3
.LBB0_6:                                ;   in Loop: Header=BB0_2 Depth=1
	s_or_b32 exec_lo, exec_lo, s0
	s_load_dwordx2 s[0:1], s[6:7], 0x0
	v_mul_lo_u32 v4, v8, s18
	v_mul_lo_u32 v11, v7, s19
	v_mad_u64_u32 v[9:10], null, v7, s18, 0
	s_add_u32 s16, s16, 1
	s_addc_u32 s17, s17, 0
	s_add_u32 s6, s6, 8
	s_addc_u32 s7, s7, 0
	;; [unrolled: 2-line block ×3, first 2 shown]
	v_add3_u32 v4, v10, v11, v4
	v_sub_co_u32 v5, vcc_lo, v5, v9
	v_sub_co_ci_u32_e32 v4, vcc_lo, v6, v4, vcc_lo
	s_waitcnt lgkmcnt(0)
	v_mul_lo_u32 v6, s1, v5
	v_mul_lo_u32 v4, s0, v4
	v_mad_u64_u32 v[1:2], null, s0, v5, v[1:2]
	v_cmp_ge_u64_e64 s0, s[16:17], s[10:11]
	s_and_b32 vcc_lo, exec_lo, s0
	v_add3_u32 v2, v6, v2, v4
	s_cbranch_vccnz .LBB0_9
; %bb.7:                                ;   in Loop: Header=BB0_2 Depth=1
	v_mov_b32_e32 v5, v7
	v_mov_b32_e32 v6, v8
	s_branch .LBB0_2
.LBB0_8:
	v_mov_b32_e32 v8, v6
	v_mov_b32_e32 v7, v5
.LBB0_9:
	s_lshl_b64 s[0:1], s[10:11], 3
	v_mul_hi_u32 v3, 0x2d02d03, v0
	s_add_u32 s0, s12, s0
	s_addc_u32 s1, s13, s1
	v_mov_b32_e32 v67, 0
	s_load_dwordx2 s[0:1], s[0:1], 0x0
	s_load_dwordx2 s[4:5], s[4:5], 0x20
                                        ; implicit-def: $vgpr10_vgpr11
                                        ; implicit-def: $vgpr14_vgpr15
                                        ; implicit-def: $vgpr18_vgpr19
                                        ; implicit-def: $vgpr26_vgpr27
                                        ; implicit-def: $vgpr30_vgpr31
                                        ; implicit-def: $vgpr34_vgpr35
                                        ; implicit-def: $vgpr22_vgpr23
                                        ; implicit-def: $vgpr38_vgpr39
                                        ; implicit-def: $vgpr42_vgpr43
                                        ; implicit-def: $vgpr46_vgpr47
                                        ; implicit-def: $vgpr50_vgpr51
	s_waitcnt lgkmcnt(0)
	v_mul_lo_u32 v4, s0, v8
	v_mul_lo_u32 v5, s1, v7
	v_mad_u64_u32 v[64:65], null, s0, v7, v[1:2]
	v_mul_u32_u24_e32 v1, 0x5b, v3
	v_cmp_gt_u64_e32 vcc_lo, s[4:5], v[7:8]
                                        ; implicit-def: $vgpr2_vgpr3
                                        ; implicit-def: $vgpr6_vgpr7
	v_sub_nc_u32_e32 v66, v0, v1
	v_add3_u32 v65, v5, v65, v4
	s_and_saveexec_b32 s1, vcc_lo
	s_cbranch_execz .LBB0_13
; %bb.10:
	s_mov_b32 s4, exec_lo
                                        ; implicit-def: $vgpr4_vgpr5
                                        ; implicit-def: $vgpr48_vgpr49
                                        ; implicit-def: $vgpr44_vgpr45
                                        ; implicit-def: $vgpr40_vgpr41
                                        ; implicit-def: $vgpr36_vgpr37
                                        ; implicit-def: $vgpr20_vgpr21
                                        ; implicit-def: $vgpr32_vgpr33
                                        ; implicit-def: $vgpr28_vgpr29
                                        ; implicit-def: $vgpr24_vgpr25
                                        ; implicit-def: $vgpr16_vgpr17
                                        ; implicit-def: $vgpr12_vgpr13
                                        ; implicit-def: $vgpr8_vgpr9
                                        ; implicit-def: $vgpr0_vgpr1
	v_cmpx_gt_u32_e32 49, v66
	s_cbranch_execz .LBB0_12
; %bb.11:
	v_mov_b32_e32 v67, 0
	v_lshlrev_b64 v[0:1], 4, v[64:65]
	v_lshlrev_b64 v[2:3], 4, v[66:67]
	v_add_co_u32 v0, s0, s2, v0
	v_add_co_ci_u32_e64 v1, s0, s3, v1, s0
	v_add_co_u32 v0, s0, v0, v2
	v_add_co_ci_u32_e64 v1, s0, v1, v3, s0
	v_add_co_u32 v2, s0, 0x800, v0
	v_add_co_ci_u32_e64 v3, s0, 0, v1, s0
	s_clause 0x5
	global_load_dwordx4 v[4:7], v[0:1], off
	global_load_dwordx4 v[48:51], v[0:1], off offset:784
	global_load_dwordx4 v[44:47], v[0:1], off offset:1568
	;; [unrolled: 1-line block ×5, first 2 shown]
	v_add_co_u32 v2, s0, 0x1000, v0
	v_add_co_ci_u32_e64 v3, s0, 0, v1, s0
	v_add_co_u32 v8, s0, 0x1800, v0
	v_add_co_ci_u32_e64 v9, s0, 0, v1, s0
	;; [unrolled: 2-line block ×3, first 2 shown]
	s_clause 0x6
	global_load_dwordx4 v[32:35], v[2:3], off offset:608
	global_load_dwordx4 v[28:31], v[2:3], off offset:1392
	;; [unrolled: 1-line block ×7, first 2 shown]
.LBB0_12:
	s_or_b32 exec_lo, exec_lo, s4
	v_mov_b32_e32 v67, v66
.LBB0_13:
	s_or_b32 exec_lo, exec_lo, s1
	v_cmp_gt_u32_e64 s0, 49, v66
	s_and_saveexec_b32 s1, s0
	s_cbranch_execz .LBB0_15
; %bb.14:
	s_waitcnt vmcnt(11)
	v_add_f64 v[56:57], v[48:49], v[4:5]
	s_waitcnt vmcnt(0)
	v_add_f64 v[54:55], v[0:1], v[48:49]
	s_mov_b32 s4, 0xebaa3ed8
	s_mov_b32 s5, 0x3fbedb7d
	s_mov_b32 s30, 0x1ea71119
	s_mov_b32 s31, 0x3fe22d96
	v_add_f64 v[52:53], v[50:51], -v[2:3]
	v_add_f64 v[58:59], v[8:9], v[44:45]
	s_mov_b32 s12, 0x66966769
	s_mov_b32 s20, 0x93053d00
	;; [unrolled: 1-line block ×10, first 2 shown]
	v_add_f64 v[60:61], v[46:47], -v[10:11]
	v_add_f64 v[70:71], v[12:13], v[40:41]
	s_mov_b32 s6, 0x4bc48dbf
	s_mov_b32 s7, 0x3fcea1e5
	v_add_f64 v[56:57], v[44:45], v[56:57]
	v_mul_f64 v[62:63], v[54:55], s[4:5]
	v_mul_f64 v[68:69], v[54:55], s[30:31]
	;; [unrolled: 1-line block ×5, first 2 shown]
	s_mov_b32 s11, 0xbfcea1e5
	v_mul_f64 v[78:79], v[58:59], s[20:21]
	v_mul_f64 v[80:81], v[58:59], s[34:35]
	s_mov_b32 s14, 0x2ef20147
	s_mov_b32 s24, 0x24c2f84
	;; [unrolled: 1-line block ×9, first 2 shown]
	v_add_f64 v[72:73], v[42:43], -v[14:15]
	v_add_f64 v[74:75], v[16:17], v[36:37]
	v_mul_f64 v[100:101], v[70:71], s[34:35]
	s_mov_b32 s42, 0xe00740e9
	v_add_f64 v[56:57], v[40:41], v[56:57]
	v_fma_f64 v[82:83], v[52:53], s[12:13], v[62:63]
	v_fma_f64 v[84:85], v[52:53], s[16:17], v[68:69]
	v_mul_f64 v[102:103], v[70:71], s[20:21]
	v_mul_f64 v[108:109], v[58:59], s[4:5]
	v_fma_f64 v[112:113], v[52:53], s[38:39], v[90:91]
	s_mov_b32 s43, 0x3fec55a7
	v_fma_f64 v[104:105], v[60:61], s[10:11], v[78:79]
	v_fma_f64 v[106:107], v[60:61], s[22:23], v[80:81]
	v_mul_f64 v[110:111], v[58:59], s[40:41]
	v_mul_f64 v[114:115], v[58:59], s[42:43]
	;; [unrolled: 1-line block ×3, first 2 shown]
	v_fma_f64 v[122:123], v[52:53], s[22:23], v[96:97]
	v_fma_f64 v[126:127], v[52:53], s[6:7], v[98:99]
	;; [unrolled: 1-line block ×3, first 2 shown]
	s_mov_b32 s29, 0x3fefc445
	s_mov_b32 s28, s12
	v_add_f64 v[76:77], v[38:39], -v[18:19]
	v_add_f64 v[86:87], v[24:25], v[20:21]
	v_mul_f64 v[116:117], v[74:75], s[42:43]
	v_fma_f64 v[132:133], v[72:73], s[14:15], v[100:101]
	v_fma_f64 v[90:91], v[52:53], s[24:25], v[90:91]
	v_add_f64 v[56:57], v[36:37], v[56:57]
	v_add_f64 v[82:83], v[4:5], v[82:83]
	;; [unrolled: 1-line block ×3, first 2 shown]
	s_mov_b32 s18, 0x4267c47c
	s_mov_b32 s37, 0x3fea55e2
	;; [unrolled: 1-line block ×3, first 2 shown]
	v_mul_f64 v[128:129], v[70:71], s[30:31]
	v_mul_f64 v[58:59], v[58:59], s[30:31]
	v_fma_f64 v[134:135], v[60:61], s[28:29], v[108:109]
	v_add_f64 v[112:113], v[4:5], v[112:113]
	v_fma_f64 v[96:97], v[52:53], s[14:15], v[96:97]
	s_mov_b32 s19, 0xbfddbe06
	s_mov_b32 s27, 0x3fddbe06
	;; [unrolled: 1-line block ×3, first 2 shown]
	v_fma_f64 v[62:63], v[52:53], s[28:29], v[62:63]
	v_fma_f64 v[68:69], v[52:53], s[36:37], v[68:69]
	v_mul_f64 v[130:131], v[70:71], s[42:43]
	v_fma_f64 v[136:137], v[60:61], s[24:25], v[110:111]
	v_fma_f64 v[138:139], v[60:61], s[18:19], v[114:115]
	;; [unrolled: 1-line block ×3, first 2 shown]
	v_add_f64 v[122:123], v[4:5], v[122:123]
	v_fma_f64 v[52:53], v[52:53], s[26:27], v[54:55]
	v_add_f64 v[56:57], v[20:21], v[56:57]
	v_add_f64 v[82:83], v[104:105], v[82:83]
	v_fma_f64 v[104:105], v[72:73], s[10:11], v[102:103]
	v_add_f64 v[84:85], v[106:107], v[84:85]
	;; [unrolled: 3-line block ×3, first 2 shown]
	v_add_f64 v[88:89], v[22:23], -v[26:27]
	v_mul_f64 v[118:119], v[74:75], s[40:41]
	v_mul_f64 v[120:121], v[86:87], s[30:31]
	v_fma_f64 v[126:127], v[76:77], s[26:27], v[116:117]
	v_fma_f64 v[108:109], v[60:61], s[12:13], v[108:109]
	v_add_f64 v[90:91], v[4:5], v[90:91]
	v_fma_f64 v[110:111], v[60:61], s[38:39], v[110:111]
	v_fma_f64 v[78:79], v[60:61], s[6:7], v[78:79]
	;; [unrolled: 1-line block ×3, first 2 shown]
	v_add_f64 v[112:113], v[134:135], v[112:113]
	v_fma_f64 v[134:135], v[60:61], s[16:17], v[58:59]
	v_fma_f64 v[58:59], v[60:61], s[36:37], v[58:59]
	v_add_f64 v[60:61], v[4:5], v[96:97]
	v_mul_f64 v[96:97], v[70:71], s[40:41]
	v_add_f64 v[62:63], v[4:5], v[62:63]
	v_add_f64 v[56:57], v[32:33], v[56:57]
	;; [unrolled: 1-line block ×5, first 2 shown]
	v_fma_f64 v[104:105], v[72:73], s[16:17], v[128:129]
	v_add_f64 v[122:123], v[136:137], v[122:123]
	v_add_f64 v[54:55], v[138:139], v[54:55]
	v_mul_f64 v[138:139], v[74:75], s[4:5]
	v_add_f64 v[98:99], v[114:115], v[98:99]
	v_fma_f64 v[114:115], v[72:73], s[26:27], v[130:131]
	v_mul_f64 v[70:71], v[70:71], s[4:5]
	v_add_f64 v[140:141], v[4:5], v[140:141]
	v_add_f64 v[4:5], v[4:5], v[52:53]
	v_mul_f64 v[106:107], v[74:75], s[20:21]
	v_fma_f64 v[132:133], v[76:77], s[24:25], v[118:119]
	v_add_f64 v[90:91], v[108:109], v[90:91]
	v_fma_f64 v[108:109], v[88:89], s[16:17], v[120:121]
	v_fma_f64 v[100:101], v[72:73], s[22:23], v[100:101]
	;; [unrolled: 1-line block ×3, first 2 shown]
	v_add_f64 v[52:53], v[110:111], v[60:61]
	v_fma_f64 v[60:61], v[72:73], s[24:25], v[96:97]
	v_fma_f64 v[96:97], v[72:73], s[38:39], v[96:97]
	v_add_f64 v[56:57], v[28:29], v[56:57]
	v_add_f64 v[82:83], v[126:127], v[82:83]
	v_fma_f64 v[110:111], v[72:73], s[36:37], v[128:129]
	v_fma_f64 v[128:129], v[72:73], s[18:19], v[130:131]
	v_add_f64 v[104:105], v[104:105], v[112:113]
	v_mul_f64 v[112:113], v[74:75], s[30:31]
	v_add_f64 v[62:63], v[78:79], v[62:63]
	v_add_f64 v[68:69], v[80:81], v[68:69]
	v_mul_f64 v[74:75], v[74:75], s[34:35]
	v_add_f64 v[114:115], v[114:115], v[122:123]
	v_fma_f64 v[122:123], v[76:77], s[12:13], v[138:139]
	v_add_f64 v[130:131], v[134:135], v[140:141]
	v_fma_f64 v[134:135], v[72:73], s[12:13], v[70:71]
	v_fma_f64 v[70:71], v[72:73], s[28:29], v[70:71]
	v_add_f64 v[4:5], v[58:59], v[4:5]
	v_add_f64 v[92:93], v[28:29], v[32:33]
	v_mul_f64 v[124:125], v[86:87], s[4:5]
	v_add_f64 v[84:85], v[132:133], v[84:85]
	v_fma_f64 v[132:133], v[76:77], s[6:7], v[106:107]
	v_mul_f64 v[80:81], v[86:87], s[42:43]
	v_add_f64 v[54:55], v[60:61], v[54:55]
	v_add_f64 v[58:59], v[96:97], v[98:99]
	;; [unrolled: 1-line block ×4, first 2 shown]
	v_mul_f64 v[108:109], v[86:87], s[20:21]
	v_mul_f64 v[96:97], v[86:87], s[34:35]
	v_add_f64 v[90:91], v[110:111], v[90:91]
	v_fma_f64 v[60:61], v[76:77], s[16:17], v[112:113]
	v_fma_f64 v[72:73], v[76:77], s[36:37], v[112:113]
	v_add_f64 v[52:53], v[128:129], v[52:53]
	v_fma_f64 v[98:99], v[76:77], s[10:11], v[106:107]
	v_fma_f64 v[106:107], v[76:77], s[28:29], v[138:139]
	v_add_f64 v[62:63], v[100:101], v[62:63]
	v_fma_f64 v[100:101], v[76:77], s[18:19], v[116:117]
	v_add_f64 v[68:69], v[102:103], v[68:69]
	;; [unrolled: 2-line block ×3, first 2 shown]
	v_add_f64 v[114:115], v[134:135], v[130:131]
	v_fma_f64 v[116:117], v[76:77], s[22:23], v[74:75]
	v_mul_f64 v[86:87], v[86:87], s[40:41]
	v_fma_f64 v[74:75], v[76:77], s[14:15], v[74:75]
	v_add_f64 v[4:5], v[70:71], v[4:5]
	v_add_f64 v[94:95], v[34:35], -v[30:31]
	v_mul_f64 v[136:137], v[92:93], s[40:41]
	v_add_f64 v[56:57], v[16:17], v[56:57]
	v_fma_f64 v[126:127], v[88:89], s[28:29], v[124:125]
	v_mul_f64 v[78:79], v[92:93], s[42:43]
	v_add_f64 v[104:105], v[132:133], v[104:105]
	v_fma_f64 v[112:113], v[88:89], s[26:27], v[80:81]
	v_fma_f64 v[118:119], v[88:89], s[6:7], v[108:109]
	v_mul_f64 v[70:71], v[92:93], s[34:35]
	v_mul_f64 v[76:77], v[92:93], s[30:31]
	v_add_f64 v[54:55], v[60:61], v[54:55]
	v_add_f64 v[58:59], v[72:73], v[58:59]
	v_fma_f64 v[60:61], v[88:89], s[14:15], v[96:97]
	v_fma_f64 v[72:73], v[88:89], s[22:23], v[96:97]
	v_mul_f64 v[96:97], v[92:93], s[4:5]
	v_add_f64 v[90:91], v[98:99], v[90:91]
	v_add_f64 v[52:53], v[106:107], v[52:53]
	v_fma_f64 v[80:81], v[88:89], s[18:19], v[80:81]
	v_fma_f64 v[98:99], v[88:89], s[10:11], v[108:109]
	v_add_f64 v[62:63], v[100:101], v[62:63]
	v_fma_f64 v[100:101], v[88:89], s[36:37], v[120:121]
	v_add_f64 v[68:69], v[102:103], v[68:69]
	;; [unrolled: 2-line block ×3, first 2 shown]
	v_fma_f64 v[114:115], v[88:89], s[38:39], v[86:87]
	v_mul_f64 v[92:93], v[92:93], s[20:21]
	v_add_f64 v[56:57], v[12:13], v[56:57]
	v_fma_f64 v[86:87], v[88:89], s[24:25], v[86:87]
	v_add_f64 v[4:5], v[74:75], v[4:5]
	v_add_f64 v[84:85], v[126:127], v[84:85]
	v_fma_f64 v[106:107], v[94:95], s[38:39], v[136:137]
	v_fma_f64 v[74:75], v[94:95], s[26:27], v[78:79]
	v_add_f64 v[88:89], v[112:113], v[104:105]
	v_add_f64 v[104:105], v[118:119], v[110:111]
	v_fma_f64 v[110:111], v[94:95], s[22:23], v[70:71]
	;; [unrolled: 4-line block ×4, first 2 shown]
	v_fma_f64 v[76:77], v[94:95], s[16:17], v[76:77]
	v_add_f64 v[62:63], v[100:101], v[62:63]
	v_fma_f64 v[90:91], v[94:95], s[24:25], v[136:137]
	v_add_f64 v[68:69], v[102:103], v[68:69]
	;; [unrolled: 2-line block ×5, first 2 shown]
	v_add_f64 v[82:83], v[106:107], v[82:83]
	v_add_f64 v[74:75], v[74:75], v[84:85]
	;; [unrolled: 1-line block ×6, first 2 shown]
	v_mad_u32_u24 v72, 0x68, v66, 0
	v_add_f64 v[60:61], v[70:71], v[80:81]
	v_add_f64 v[52:53], v[76:77], v[52:53]
	;; [unrolled: 1-line block ×7, first 2 shown]
	ds_write2_b64 v72, v[74:75], v[82:83] offset0:2 offset1:3
	ds_write2_b64 v72, v[86:87], v[84:85] offset0:4 offset1:5
	;; [unrolled: 1-line block ×5, first 2 shown]
	ds_write2_b64 v72, v[56:57], v[70:71] offset1:1
	ds_write_b64 v72, v[4:5] offset:96
.LBB0_15:
	s_or_b32 exec_lo, exec_lo, s1
	v_lshl_add_u32 v68, v66, 3, 0
	s_waitcnt vmcnt(0) lgkmcnt(0)
	s_barrier
	buffer_gl0_inv
	v_add_nc_u32_e32 v69, 0x400, v68
	v_add_nc_u32_e32 v70, 0x800, v68
	ds_read2_b64 v[52:55], v68 offset1:91
	ds_read2_b64 v[60:63], v69 offset0:54 offset1:145
	ds_read2_b64 v[56:59], v70 offset0:108 offset1:199
	ds_read_b64 v[4:5], v68 offset:4368
	s_waitcnt lgkmcnt(0)
	s_barrier
	buffer_gl0_inv
	s_and_saveexec_b32 s33, s0
	s_cbranch_execz .LBB0_17
; %bb.16:
	v_add_f64 v[71:72], v[50:51], v[6:7]
	v_add_f64 v[0:1], v[48:49], -v[0:1]
	v_add_f64 v[16:17], v[36:37], -v[16:17]
	s_mov_b32 s24, 0x42a4c3d2
	s_mov_b32 s26, 0x66966769
	;; [unrolled: 1-line block ×11, first 2 shown]
	v_add_f64 v[50:51], v[2:3], v[50:51]
	s_mov_b32 s29, 0xbfcea1e5
	v_add_f64 v[8:9], v[44:45], -v[8:9]
	v_add_f64 v[28:29], v[32:33], -v[28:29]
	v_add_f64 v[44:45], v[14:15], v[42:43]
	s_mov_b32 s0, 0xe00740e9
	s_mov_b32 s4, 0x1ea71119
	;; [unrolled: 1-line block ×3, first 2 shown]
	v_add_f64 v[48:49], v[46:47], v[71:72]
	v_mul_f64 v[32:33], v[0:1], s[16:17]
	v_mul_f64 v[71:72], v[0:1], s[26:27]
	v_mul_f64 v[73:74], v[0:1], s[18:19]
	v_mul_f64 v[75:76], v[0:1], s[22:23]
	s_mov_b32 s1, 0x3fec55a7
	s_mov_b32 s5, 0x3fe22d96
	;; [unrolled: 1-line block ×13, first 2 shown]
	v_add_f64 v[46:47], v[10:11], v[46:47]
	v_add_f64 v[12:13], v[40:41], -v[12:13]
	v_mul_f64 v[77:78], v[8:9], s[24:25]
	v_mul_f64 v[79:80], v[8:9], s[18:19]
	v_add_f64 v[36:37], v[42:43], v[48:49]
	v_mul_f64 v[48:49], v[0:1], s[24:25]
	v_add_f64 v[42:43], v[26:27], v[22:23]
	v_mul_f64 v[0:1], v[0:1], s[28:29]
	v_mul_f64 v[81:82], v[8:9], s[28:29]
	s_mov_b32 s17, 0x3fddbe06
	v_fma_f64 v[125:126], v[50:51], s[6:7], -v[71:72]
	v_mul_f64 v[83:84], v[8:9], s[34:35]
	v_mul_f64 v[85:86], v[8:9], s[20:21]
	v_fma_f64 v[71:72], v[50:51], s[6:7], v[71:72]
	v_fma_f64 v[127:128], v[50:51], s[10:11], -v[73:74]
	v_fma_f64 v[73:74], v[50:51], s[10:11], v[73:74]
	v_fma_f64 v[129:130], v[50:51], s[12:13], -v[75:76]
	v_mul_f64 v[8:9], v[8:9], s[16:17]
	v_fma_f64 v[75:76], v[50:51], s[12:13], v[75:76]
	s_mov_b32 s37, 0x3fedeba7
	s_mov_b32 s36, s18
	v_add_f64 v[40:41], v[18:19], v[38:39]
	v_add_f64 v[20:21], v[20:21], -v[24:25]
	v_mul_f64 v[87:88], v[12:13], s[28:29]
	v_mul_f64 v[89:90], v[12:13], s[36:37]
	v_fma_f64 v[133:134], v[46:47], s[10:11], -v[79:80]
	v_add_f64 v[36:37], v[38:39], v[36:37]
	v_fma_f64 v[123:124], v[50:51], s[4:5], -v[48:49]
	v_fma_f64 v[48:49], v[50:51], s[4:5], v[48:49]
	v_fma_f64 v[131:132], v[50:51], s[14:15], -v[0:1]
	v_fma_f64 v[0:1], v[50:51], s[14:15], v[0:1]
	v_mul_f64 v[38:39], v[12:13], s[26:27]
	v_fma_f64 v[135:136], v[46:47], s[14:15], -v[81:82]
	v_add_f64 v[125:126], v[6:7], v[125:126]
	v_mul_f64 v[91:92], v[12:13], s[24:25]
	v_mul_f64 v[93:94], v[12:13], s[22:23]
	;; [unrolled: 1-line block ×3, first 2 shown]
	v_fma_f64 v[79:80], v[46:47], s[10:11], v[79:80]
	v_fma_f64 v[81:82], v[46:47], s[14:15], v[81:82]
	v_fma_f64 v[137:138], v[46:47], s[12:13], -v[83:84]
	v_fma_f64 v[83:84], v[46:47], s[12:13], v[83:84]
	v_fma_f64 v[139:140], v[46:47], s[6:7], -v[85:86]
	v_add_f64 v[71:72], v[6:7], v[71:72]
	v_add_f64 v[127:128], v[6:7], v[127:128]
	;; [unrolled: 1-line block ×7, first 2 shown]
	v_fma_f64 v[36:37], v[50:51], s[0:1], -v[32:33]
	v_fma_f64 v[32:33], v[50:51], s[0:1], v[32:33]
	v_fma_f64 v[50:51], v[46:47], s[4:5], -v[77:78]
	v_add_f64 v[123:124], v[6:7], v[123:124]
	v_add_f64 v[48:49], v[6:7], v[48:49]
	;; [unrolled: 1-line block ×4, first 2 shown]
	v_fma_f64 v[145:146], v[46:47], s[0:1], -v[8:9]
	v_fma_f64 v[8:9], v[46:47], s[0:1], v[8:9]
	v_fma_f64 v[77:78], v[46:47], s[4:5], v[77:78]
	s_mov_b32 s39, 0x3fcea1e5
	s_mov_b32 s31, 0x3fea55e2
	;; [unrolled: 1-line block ×4, first 2 shown]
	v_mul_f64 v[95:96], v[16:17], s[18:19]
	v_mul_f64 v[97:98], v[16:17], s[34:35]
	;; [unrolled: 1-line block ×5, first 2 shown]
	v_fma_f64 v[141:142], v[44:45], s[14:15], -v[87:88]
	v_mul_f64 v[16:17], v[16:17], s[16:17]
	v_add_f64 v[22:23], v[34:35], v[22:23]
	v_add_f64 v[36:37], v[6:7], v[36:37]
	v_fma_f64 v[34:35], v[46:47], s[6:7], v[85:86]
	v_add_f64 v[32:33], v[6:7], v[32:33]
	v_fma_f64 v[85:86], v[44:45], s[6:7], -v[38:39]
	v_fma_f64 v[6:7], v[44:45], s[10:11], -v[89:90]
	v_add_f64 v[123:124], v[133:134], v[123:124]
	v_add_f64 v[125:126], v[135:136], v[125:126]
	v_fma_f64 v[87:88], v[44:45], s[14:15], v[87:88]
	v_fma_f64 v[143:144], v[44:45], s[4:5], -v[91:92]
	v_fma_f64 v[46:47], v[44:45], s[0:1], -v[12:13]
	v_fma_f64 v[12:13], v[44:45], s[0:1], v[12:13]
	v_add_f64 v[48:49], v[79:80], v[48:49]
	v_add_f64 v[71:72], v[81:82], v[71:72]
	;; [unrolled: 1-line block ×5, first 2 shown]
	v_fma_f64 v[91:92], v[44:45], s[4:5], v[91:92]
	v_add_f64 v[0:1], v[8:9], v[0:1]
	v_fma_f64 v[89:90], v[44:45], s[10:11], v[89:90]
	v_fma_f64 v[38:39], v[44:45], s[6:7], v[38:39]
	v_mul_f64 v[105:106], v[20:21], s[22:23]
	v_add_f64 v[22:23], v[30:31], v[22:23]
	v_add_f64 v[36:37], v[50:51], v[36:37]
	v_fma_f64 v[30:31], v[44:45], s[12:13], -v[93:94]
	v_fma_f64 v[93:94], v[44:45], s[12:13], v[93:94]
	v_add_f64 v[34:35], v[34:35], v[75:76]
	v_add_f64 v[75:76], v[145:146], v[131:132]
	;; [unrolled: 1-line block ×3, first 2 shown]
	v_mul_f64 v[107:108], v[20:21], s[20:21]
	v_mul_f64 v[109:110], v[20:21], s[24:25]
	v_fma_f64 v[50:51], v[40:41], s[10:11], -v[95:96]
	v_fma_f64 v[95:96], v[40:41], s[10:11], v[95:96]
	v_fma_f64 v[133:134], v[40:41], s[12:13], -v[97:98]
	v_fma_f64 v[97:98], v[40:41], s[12:13], v[97:98]
	v_fma_f64 v[79:80], v[40:41], s[6:7], -v[99:100]
	v_fma_f64 v[77:78], v[40:41], s[4:5], v[103:104]
	v_fma_f64 v[129:130], v[40:41], s[0:1], -v[16:17]
	v_fma_f64 v[16:17], v[40:41], s[0:1], v[16:17]
	v_add_f64 v[6:7], v[6:7], v[125:126]
	v_mul_f64 v[111:112], v[20:21], s[38:39]
	v_mul_f64 v[113:114], v[20:21], s[18:19]
	;; [unrolled: 1-line block ×3, first 2 shown]
	v_add_f64 v[48:49], v[87:88], v[48:49]
	v_add_f64 v[8:9], v[26:27], v[22:23]
	v_fma_f64 v[22:23], v[40:41], s[6:7], v[99:100]
	v_fma_f64 v[26:27], v[40:41], s[14:15], -v[101:102]
	v_fma_f64 v[99:100], v[40:41], s[14:15], v[101:102]
	v_fma_f64 v[101:102], v[40:41], s[4:5], -v[103:104]
	v_add_f64 v[36:37], v[85:86], v[36:37]
	v_add_f64 v[40:41], v[141:142], v[123:124]
	;; [unrolled: 1-line block ×10, first 2 shown]
	v_mul_f64 v[115:116], v[28:29], s[28:29]
	v_mul_f64 v[117:118], v[28:29], s[22:23]
	;; [unrolled: 1-line block ×6, first 2 shown]
	v_fma_f64 v[103:104], v[42:43], s[12:13], -v[105:106]
	v_add_f64 v[8:9], v[18:19], v[8:9]
	v_fma_f64 v[127:128], v[42:43], s[6:7], -v[107:108]
	v_fma_f64 v[75:76], v[42:43], s[4:5], -v[109:110]
	v_add_f64 v[6:7], v[129:130], v[6:7]
	v_fma_f64 v[18:19], v[42:43], s[6:7], v[107:108]
	v_add_f64 v[36:37], v[50:51], v[36:37]
	v_add_f64 v[40:41], v[133:134], v[40:41]
	v_fma_f64 v[83:84], v[42:43], s[14:15], -v[111:112]
	v_fma_f64 v[89:90], v[42:43], s[0:1], -v[20:21]
	v_add_f64 v[48:49], v[97:98], v[48:49]
	v_add_f64 v[46:47], v[79:80], v[46:47]
	;; [unrolled: 1-line block ×4, first 2 shown]
	v_fma_f64 v[85:86], v[42:43], s[10:11], -v[113:114]
	v_fma_f64 v[87:88], v[42:43], s[10:11], v[113:114]
	v_fma_f64 v[20:21], v[42:43], s[0:1], v[20:21]
	v_add_f64 v[26:27], v[99:100], v[34:35]
	v_add_f64 v[30:31], v[101:102], v[30:31]
	;; [unrolled: 1-line block ×3, first 2 shown]
	v_fma_f64 v[38:39], v[42:43], s[14:15], v[111:112]
	v_fma_f64 v[81:82], v[42:43], s[4:5], v[109:110]
	v_add_f64 v[16:17], v[16:17], v[71:72]
	v_add_f64 v[8:9], v[14:15], v[8:9]
	v_fma_f64 v[14:15], v[42:43], s[12:13], v[105:106]
	v_add_f64 v[32:33], v[95:96], v[32:33]
	v_fma_f64 v[34:35], v[24:25], s[14:15], -v[115:116]
	v_fma_f64 v[42:43], v[24:25], s[12:13], -v[117:118]
	;; [unrolled: 1-line block ×3, first 2 shown]
	v_add_f64 v[36:37], v[103:104], v[36:37]
	v_add_f64 v[40:41], v[127:128], v[40:41]
	v_add_f64 v[6:7], v[75:76], v[6:7]
	v_fma_f64 v[50:51], v[24:25], s[4:5], -v[119:120]
	v_fma_f64 v[73:74], v[24:25], s[10:11], -v[121:122]
	v_fma_f64 v[28:29], v[24:25], s[0:1], v[28:29]
	v_add_f64 v[18:19], v[18:19], v[48:49]
	v_add_f64 v[46:47], v[83:84], v[46:47]
	v_add_f64 v[22:23], v[89:90], v[22:23]
	v_fma_f64 v[77:78], v[24:25], s[6:7], -v[44:45]
	v_add_f64 v[20:21], v[20:21], v[26:27]
	v_add_f64 v[26:27], v[85:86], v[30:31]
	;; [unrolled: 1-line block ×3, first 2 shown]
	v_fma_f64 v[71:72], v[24:25], s[4:5], v[119:120]
	v_add_f64 v[12:13], v[38:39], v[12:13]
	v_fma_f64 v[30:31], v[24:25], s[10:11], v[121:122]
	v_add_f64 v[8:9], v[10:11], v[8:9]
	;; [unrolled: 2-line block ×3, first 2 shown]
	v_fma_f64 v[38:39], v[24:25], s[12:13], v[117:118]
	v_fma_f64 v[24:25], v[24:25], s[14:15], v[115:116]
	v_add_f64 v[14:15], v[14:15], v[32:33]
	v_add_f64 v[32:33], v[34:35], v[36:37]
	;; [unrolled: 1-line block ×14, first 2 shown]
	v_mad_u32_u24 v14, 0x60, v66, v68
	ds_write2_b64 v14, v[34:35], v[6:7] offset0:2 offset1:3
	ds_write2_b64 v14, v[28:29], v[22:23] offset0:4 offset1:5
	;; [unrolled: 1-line block ×5, first 2 shown]
	ds_write2_b64 v14, v[2:3], v[32:33] offset1:1
	ds_write_b64 v14, v[8:9] offset:96
.LBB0_17:
	s_or_b32 exec_lo, exec_lo, s33
	v_and_b32_e32 v0, 0xff, v66
	v_mov_b32_e32 v1, 6
	s_waitcnt lgkmcnt(0)
	s_barrier
	buffer_gl0_inv
	v_mul_lo_u16 v0, 0x4f, v0
	s_mov_b32 s6, 0x37e14327
	s_mov_b32 s14, 0xe976ee23
	;; [unrolled: 1-line block ×4, first 2 shown]
	v_lshrrev_b16 v71, 10, v0
	s_mov_b32 s15, 0x3fe11646
	s_mov_b32 s0, 0x429ad128
	;; [unrolled: 1-line block ×4, first 2 shown]
	v_mul_lo_u16 v0, v71, 13
	s_mov_b32 s10, 0xaaaaaaaa
	s_mov_b32 s22, 0xb247c609
	;; [unrolled: 1-line block ×4, first 2 shown]
	v_sub_nc_u16 v72, v66, v0
	s_mov_b32 s23, 0xbfd5d0dc
	s_mov_b32 s13, 0x3fe77f67
	;; [unrolled: 1-line block ×4, first 2 shown]
	v_mul_u32_u24_sdwa v0, v72, v1 dst_sel:DWORD dst_unused:UNUSED_PAD src0_sel:BYTE_0 src1_sel:DWORD
	s_mov_b32 s16, s12
	s_mov_b32 s20, s22
	;; [unrolled: 1-line block ×4, first 2 shown]
	v_lshlrev_b32_e32 v22, 4, v0
	s_clause 0x5
	global_load_dwordx4 v[0:3], v22, s[8:9]
	global_load_dwordx4 v[6:9], v22, s[8:9] offset:16
	global_load_dwordx4 v[10:13], v22, s[8:9] offset:80
	;; [unrolled: 1-line block ×5, first 2 shown]
	ds_read2_b64 v[26:29], v68 offset1:91
	ds_read2_b64 v[30:33], v69 offset0:54 offset1:145
	ds_read_b64 v[38:39], v68 offset:4368
	ds_read2_b64 v[34:37], v70 offset0:108 offset1:199
	s_waitcnt vmcnt(0) lgkmcnt(0)
	s_barrier
	buffer_gl0_inv
	v_mul_f64 v[40:41], v[28:29], v[2:3]
	v_mul_f64 v[42:43], v[30:31], v[8:9]
	;; [unrolled: 1-line block ×12, first 2 shown]
	v_fma_f64 v[40:41], v[54:55], v[0:1], v[40:41]
	v_fma_f64 v[42:43], v[60:61], v[6:7], v[42:43]
	;; [unrolled: 1-line block ×4, first 2 shown]
	v_fma_f64 v[0:1], v[28:29], v[0:1], -v[2:3]
	v_fma_f64 v[2:3], v[30:31], v[6:7], -v[8:9]
	v_fma_f64 v[6:7], v[62:63], v[18:19], v[48:49]
	v_fma_f64 v[8:9], v[38:39], v[10:11], -v[12:13]
	v_fma_f64 v[10:11], v[36:37], v[14:15], -v[16:17]
	;; [unrolled: 1-line block ×3, first 2 shown]
	v_fma_f64 v[14:15], v[56:57], v[22:23], v[50:51]
	v_fma_f64 v[16:17], v[34:35], v[22:23], -v[24:25]
	v_add_f64 v[18:19], v[40:41], v[4:5]
	v_add_f64 v[20:21], v[42:43], v[44:45]
	v_add_f64 v[4:5], v[40:41], -v[4:5]
	v_add_f64 v[22:23], v[0:1], v[8:9]
	v_add_f64 v[24:25], v[2:3], v[10:11]
	v_add_f64 v[2:3], v[2:3], -v[10:11]
	v_add_f64 v[10:11], v[6:7], v[14:15]
	v_add_f64 v[28:29], v[16:17], -v[12:13]
	v_add_f64 v[0:1], v[0:1], -v[8:9]
	v_add_f64 v[12:13], v[12:13], v[16:17]
	v_add_f64 v[16:17], v[42:43], -v[44:45]
	v_add_f64 v[6:7], v[14:15], -v[6:7]
	v_add_f64 v[8:9], v[20:21], v[18:19]
	v_add_f64 v[14:15], v[24:25], v[22:23]
	v_add_f64 v[30:31], v[18:19], -v[10:11]
	v_add_f64 v[32:33], v[28:29], -v[2:3]
	;; [unrolled: 1-line block ×5, first 2 shown]
	v_add_f64 v[2:3], v[28:29], v[2:3]
	v_add_f64 v[40:41], v[6:7], -v[16:17]
	v_add_f64 v[28:29], v[0:1], -v[28:29]
	;; [unrolled: 1-line block ×5, first 2 shown]
	v_add_f64 v[16:17], v[6:7], v[16:17]
	v_add_f64 v[6:7], v[4:5], -v[6:7]
	v_add_f64 v[8:9], v[10:11], v[8:9]
	v_add_f64 v[10:11], v[10:11], -v[20:21]
	v_add_f64 v[12:13], v[12:13], v[14:15]
	v_mul_f64 v[14:15], v[30:31], s[6:7]
	v_mul_f64 v[30:31], v[32:33], s[14:15]
	;; [unrolled: 1-line block ×5, first 2 shown]
	v_add_f64 v[0:1], v[2:3], v[0:1]
	v_mul_f64 v[2:3], v[40:41], s[14:15]
	v_mul_f64 v[40:41], v[42:43], s[0:1]
	v_add_f64 v[4:5], v[16:17], v[4:5]
	v_add_f64 v[44:45], v[52:53], v[8:9]
	v_mul_f64 v[20:21], v[10:11], s[4:5]
	v_add_f64 v[26:27], v[26:27], v[12:13]
	v_fma_f64 v[10:11], v[10:11], s[4:5], v[14:15]
	v_fma_f64 v[46:47], v[28:29], s[22:23], v[30:31]
	v_fma_f64 v[30:31], v[34:35], s[0:1], -v[30:31]
	v_fma_f64 v[28:29], v[28:29], s[20:21], -v[32:33]
	;; [unrolled: 1-line block ×3, first 2 shown]
	v_fma_f64 v[16:17], v[38:39], s[4:5], v[24:25]
	v_fma_f64 v[8:9], v[8:9], s[10:11], v[44:45]
	v_fma_f64 v[18:19], v[18:19], s[12:13], -v[20:21]
	v_fma_f64 v[20:21], v[22:23], s[12:13], -v[36:37]
	;; [unrolled: 1-line block ×3, first 2 shown]
	v_fma_f64 v[24:25], v[6:7], s[22:23], v[2:3]
	v_fma_f64 v[2:3], v[42:43], s[0:1], -v[2:3]
	v_fma_f64 v[6:7], v[6:7], s[20:21], -v[40:41]
	v_fma_f64 v[12:13], v[12:13], s[10:11], v[26:27]
	v_fma_f64 v[32:33], v[0:1], s[18:19], v[46:47]
	;; [unrolled: 1-line block ×4, first 2 shown]
	v_mov_b32_e32 v28, 0x2d8
	v_mov_b32_e32 v29, 3
	v_add_f64 v[10:11], v[10:11], v[8:9]
	v_add_f64 v[14:15], v[14:15], v[8:9]
	;; [unrolled: 1-line block ×3, first 2 shown]
	v_fma_f64 v[18:19], v[4:5], s[18:19], v[24:25]
	v_fma_f64 v[2:3], v[4:5], s[18:19], v[2:3]
	;; [unrolled: 1-line block ×3, first 2 shown]
	v_add_f64 v[6:7], v[16:17], v[12:13]
	v_add_f64 v[16:17], v[22:23], v[12:13]
	;; [unrolled: 1-line block ×5, first 2 shown]
	v_add_f64 v[24:25], v[8:9], -v[30:31]
	v_add_f64 v[8:9], v[30:31], v[8:9]
	v_add_f64 v[0:1], v[14:15], -v[0:1]
	v_add_f64 v[10:11], v[10:11], -v[32:33]
	v_mul_u32_u24_sdwa v14, v71, v28 dst_sel:DWORD dst_unused:UNUSED_PAD src0_sel:WORD_0 src1_sel:DWORD
	v_lshlrev_b32_sdwa v15, v29, v72 dst_sel:DWORD dst_unused:UNUSED_PAD src0_sel:DWORD src1_sel:BYTE_0
	v_add_f64 v[28:29], v[16:17], -v[4:5]
	v_add_f64 v[30:31], v[2:3], v[12:13]
	v_add_f64 v[32:33], v[12:13], -v[2:3]
	v_add_f64 v[16:17], v[4:5], v[16:17]
	v_add3_u32 v34, 0, v14, v15
	v_add_f64 v[14:15], v[6:7], -v[18:19]
	v_add_f64 v[18:19], v[18:19], v[6:7]
	ds_write2_b64 v34, v[44:45], v[20:21] offset1:13
	ds_write2_b64 v34, v[22:23], v[24:25] offset0:26 offset1:39
	ds_write2_b64 v34, v[8:9], v[0:1] offset0:52 offset1:65
	ds_write_b64 v34, v[10:11] offset:624
	s_waitcnt lgkmcnt(0)
	s_barrier
	buffer_gl0_inv
	ds_read2_b64 v[0:3], v68 offset1:91
	ds_read2_b64 v[4:7], v69 offset0:54 offset1:145
	ds_read2_b64 v[8:11], v70 offset0:108 offset1:199
	ds_read_b64 v[12:13], v68 offset:4368
	s_waitcnt lgkmcnt(0)
	s_barrier
	buffer_gl0_inv
	ds_write2_b64 v34, v[26:27], v[14:15] offset1:13
	ds_write2_b64 v34, v[28:29], v[30:31] offset0:26 offset1:39
	ds_write2_b64 v34, v[32:33], v[16:17] offset0:52 offset1:65
	ds_write_b64 v34, v[18:19] offset:624
	s_waitcnt lgkmcnt(0)
	s_barrier
	buffer_gl0_inv
	s_and_saveexec_b32 s24, vcc_lo
	s_cbranch_execz .LBB0_19
; %bb.18:
	v_mul_u32_u24_e32 v14, 6, v66
	v_add_nc_u32_e32 v42, 0x800, v68
	v_add_nc_u32_e32 v46, 0x400, v68
	v_lshlrev_b32_e32 v34, 4, v14
	s_clause 0x5
	global_load_dwordx4 v[14:17], v34, s[8:9] offset:1264
	global_load_dwordx4 v[18:21], v34, s[8:9] offset:1312
	;; [unrolled: 1-line block ×6, first 2 shown]
	ds_read2_b64 v[38:41], v68 offset1:91
	ds_read_b64 v[50:51], v68 offset:4368
	ds_read2_b64 v[42:45], v42 offset0:108 offset1:199
	ds_read2_b64 v[46:49], v46 offset0:54 offset1:145
	v_mov_b32_e32 v68, 0
	s_waitcnt vmcnt(5)
	v_mul_f64 v[52:53], v[4:5], v[14:15]
	s_waitcnt vmcnt(4)
	v_mul_f64 v[54:55], v[10:11], v[18:19]
	v_mul_f64 v[4:5], v[4:5], v[16:17]
	v_mul_f64 v[10:11], v[10:11], v[20:21]
	s_waitcnt vmcnt(3)
	v_mul_f64 v[56:57], v[2:3], v[24:25]
	s_waitcnt vmcnt(2)
	v_mul_f64 v[58:59], v[12:13], v[28:29]
	v_mul_f64 v[2:3], v[2:3], v[22:23]
	v_mul_f64 v[12:13], v[12:13], v[26:27]
	;; [unrolled: 6-line block ×3, first 2 shown]
	s_waitcnt lgkmcnt(0)
	v_fma_f64 v[16:17], v[46:47], v[16:17], v[52:53]
	v_fma_f64 v[20:21], v[44:45], v[20:21], v[54:55]
	v_fma_f64 v[4:5], v[46:47], v[14:15], -v[4:5]
	v_fma_f64 v[10:11], v[44:45], v[18:19], -v[10:11]
	;; [unrolled: 1-line block ×4, first 2 shown]
	v_fma_f64 v[2:3], v[40:41], v[24:25], v[2:3]
	v_fma_f64 v[12:13], v[50:51], v[28:29], v[12:13]
	;; [unrolled: 1-line block ×4, first 2 shown]
	v_fma_f64 v[6:7], v[48:49], v[34:35], -v[6:7]
	v_fma_f64 v[8:9], v[42:43], v[30:31], -v[8:9]
	v_add_f64 v[30:31], v[16:17], v[20:21]
	v_add_f64 v[16:17], v[16:17], -v[20:21]
	v_add_f64 v[26:27], v[4:5], v[10:11]
	v_add_f64 v[4:5], v[4:5], -v[10:11]
	v_add_f64 v[28:29], v[14:15], v[18:19]
	v_add_f64 v[32:33], v[2:3], v[12:13]
	v_add_f64 v[34:35], v[22:23], -v[24:25]
	v_add_f64 v[22:23], v[22:23], v[24:25]
	v_add_f64 v[20:21], v[8:9], v[6:7]
	v_add_f64 v[6:7], v[8:9], -v[6:7]
	v_add_f64 v[8:9], v[2:3], -v[12:13]
	;; [unrolled: 1-line block ×3, first 2 shown]
	v_add_f64 v[2:3], v[26:27], v[28:29]
	v_add_f64 v[10:11], v[30:31], v[32:33]
	v_add_f64 v[14:15], v[34:35], -v[16:17]
	v_add_f64 v[24:25], v[32:33], -v[22:23]
	;; [unrolled: 1-line block ×6, first 2 shown]
	v_add_f64 v[16:17], v[34:35], v[16:17]
	v_add_f64 v[34:35], v[8:9], -v[34:35]
	v_add_f64 v[4:5], v[6:7], v[4:5]
	v_add_f64 v[6:7], v[12:13], -v[6:7]
	;; [unrolled: 2-line block ×4, first 2 shown]
	v_mul_f64 v[14:15], v[14:15], s[14:15]
	v_mul_f64 v[24:25], v[24:25], s[6:7]
	;; [unrolled: 1-line block ×5, first 2 shown]
	v_add_f64 v[26:27], v[26:27], -v[28:29]
	v_add_f64 v[30:31], v[30:31], -v[32:33]
	v_add_f64 v[8:9], v[16:17], v[8:9]
	v_add_f64 v[4:5], v[4:5], v[12:13]
	;; [unrolled: 1-line block ×3, first 2 shown]
	v_mul_f64 v[38:39], v[44:45], s[0:1]
	v_add_f64 v[0:1], v[0:1], v[10:11]
	v_mul_f64 v[28:29], v[20:21], s[4:5]
	v_mul_f64 v[32:33], v[22:23], s[4:5]
	v_fma_f64 v[12:13], v[34:35], s[22:23], v[14:15]
	v_fma_f64 v[16:17], v[20:21], s[4:5], v[18:19]
	;; [unrolled: 1-line block ×4, first 2 shown]
	v_fma_f64 v[14:15], v[40:41], s[0:1], -v[14:15]
	v_fma_f64 v[34:35], v[34:35], s[20:21], -v[46:47]
	;; [unrolled: 1-line block ×4, first 2 shown]
	v_fma_f64 v[40:41], v[42:43], s[10:11], v[2:3]
	v_fma_f64 v[6:7], v[6:7], s[20:21], -v[38:39]
	v_fma_f64 v[10:11], v[10:11], s[10:11], v[0:1]
	v_fma_f64 v[26:27], v[26:27], s[12:13], -v[28:29]
	v_fma_f64 v[28:29], v[44:45], s[0:1], -v[36:37]
	;; [unrolled: 1-line block ×3, first 2 shown]
	v_fma_f64 v[12:13], v[8:9], s[18:19], v[12:13]
	v_fma_f64 v[32:33], v[4:5], s[18:19], v[22:23]
	;; [unrolled: 1-line block ×4, first 2 shown]
	v_lshlrev_b64 v[14:15], 4, v[64:65]
	v_add_f64 v[16:17], v[16:17], v[40:41]
	v_add_f64 v[34:35], v[18:19], v[40:41]
	;; [unrolled: 1-line block ×3, first 2 shown]
	v_fma_f64 v[36:37], v[4:5], s[18:19], v[6:7]
	v_add_f64 v[38:39], v[24:25], v[10:11]
	v_add_f64 v[18:19], v[26:27], v[40:41]
	v_fma_f64 v[28:29], v[4:5], s[18:19], v[28:29]
	v_add_f64 v[30:31], v[30:31], v[10:11]
	v_lshlrev_b64 v[4:5], 4, v[67:68]
	v_add_co_u32 v6, vcc_lo, s2, v14
	v_add_co_ci_u32_e32 v7, vcc_lo, s3, v15, vcc_lo
	v_add_co_u32 v40, vcc_lo, v6, v4
	v_add_co_ci_u32_e32 v41, vcc_lo, v7, v5, vcc_lo
	v_add_f64 v[26:27], v[16:17], -v[12:13]
	v_add_f64 v[10:11], v[22:23], v[34:35]
	v_add_f64 v[24:25], v[32:33], v[20:21]
	v_add_f64 v[4:5], v[20:21], -v[32:33]
	v_add_f64 v[22:23], v[34:35], -v[22:23]
	v_add_f64 v[20:21], v[36:37], v[38:39]
	v_add_f64 v[6:7], v[12:13], v[16:17]
	v_add_f64 v[14:15], v[18:19], -v[8:9]
	v_add_f64 v[18:19], v[8:9], v[18:19]
	v_add_f64 v[16:17], v[30:31], -v[28:29]
	v_add_f64 v[12:13], v[28:29], v[30:31]
	v_add_f64 v[8:9], v[38:39], -v[36:37]
	v_add_co_u32 v28, vcc_lo, 0x800, v40
	v_add_co_ci_u32_e32 v29, vcc_lo, 0, v41, vcc_lo
	v_add_co_u32 v30, vcc_lo, 0x1000, v40
	v_add_co_ci_u32_e32 v31, vcc_lo, 0, v41, vcc_lo
	;; [unrolled: 2-line block ×4, first 2 shown]
	global_store_dwordx4 v[40:41], v[0:3], off
	global_store_dwordx4 v[40:41], v[24:27], off offset:1456
	global_store_dwordx4 v[28:29], v[20:23], off offset:864
	;; [unrolled: 1-line block ×6, first 2 shown]
.LBB0_19:
	s_endpgm
	.section	.rodata,"a",@progbits
	.p2align	6, 0x0
	.amdhsa_kernel fft_rtc_back_len637_factors_13_7_7_wgs_91_tpt_91_halfLds_dp_ip_CI_unitstride_sbrr_dirReg
		.amdhsa_group_segment_fixed_size 0
		.amdhsa_private_segment_fixed_size 0
		.amdhsa_kernarg_size 88
		.amdhsa_user_sgpr_count 6
		.amdhsa_user_sgpr_private_segment_buffer 1
		.amdhsa_user_sgpr_dispatch_ptr 0
		.amdhsa_user_sgpr_queue_ptr 0
		.amdhsa_user_sgpr_kernarg_segment_ptr 1
		.amdhsa_user_sgpr_dispatch_id 0
		.amdhsa_user_sgpr_flat_scratch_init 0
		.amdhsa_user_sgpr_private_segment_size 0
		.amdhsa_wavefront_size32 1
		.amdhsa_uses_dynamic_stack 0
		.amdhsa_system_sgpr_private_segment_wavefront_offset 0
		.amdhsa_system_sgpr_workgroup_id_x 1
		.amdhsa_system_sgpr_workgroup_id_y 0
		.amdhsa_system_sgpr_workgroup_id_z 0
		.amdhsa_system_sgpr_workgroup_info 0
		.amdhsa_system_vgpr_workitem_id 0
		.amdhsa_next_free_vgpr 147
		.amdhsa_next_free_sgpr 44
		.amdhsa_reserve_vcc 1
		.amdhsa_reserve_flat_scratch 0
		.amdhsa_float_round_mode_32 0
		.amdhsa_float_round_mode_16_64 0
		.amdhsa_float_denorm_mode_32 3
		.amdhsa_float_denorm_mode_16_64 3
		.amdhsa_dx10_clamp 1
		.amdhsa_ieee_mode 1
		.amdhsa_fp16_overflow 0
		.amdhsa_workgroup_processor_mode 1
		.amdhsa_memory_ordered 1
		.amdhsa_forward_progress 0
		.amdhsa_shared_vgpr_count 0
		.amdhsa_exception_fp_ieee_invalid_op 0
		.amdhsa_exception_fp_denorm_src 0
		.amdhsa_exception_fp_ieee_div_zero 0
		.amdhsa_exception_fp_ieee_overflow 0
		.amdhsa_exception_fp_ieee_underflow 0
		.amdhsa_exception_fp_ieee_inexact 0
		.amdhsa_exception_int_div_zero 0
	.end_amdhsa_kernel
	.text
.Lfunc_end0:
	.size	fft_rtc_back_len637_factors_13_7_7_wgs_91_tpt_91_halfLds_dp_ip_CI_unitstride_sbrr_dirReg, .Lfunc_end0-fft_rtc_back_len637_factors_13_7_7_wgs_91_tpt_91_halfLds_dp_ip_CI_unitstride_sbrr_dirReg
                                        ; -- End function
	.section	.AMDGPU.csdata,"",@progbits
; Kernel info:
; codeLenInByte = 7948
; NumSgprs: 46
; NumVgprs: 147
; ScratchSize: 0
; MemoryBound: 1
; FloatMode: 240
; IeeeMode: 1
; LDSByteSize: 0 bytes/workgroup (compile time only)
; SGPRBlocks: 5
; VGPRBlocks: 18
; NumSGPRsForWavesPerEU: 46
; NumVGPRsForWavesPerEU: 147
; Occupancy: 6
; WaveLimiterHint : 1
; COMPUTE_PGM_RSRC2:SCRATCH_EN: 0
; COMPUTE_PGM_RSRC2:USER_SGPR: 6
; COMPUTE_PGM_RSRC2:TRAP_HANDLER: 0
; COMPUTE_PGM_RSRC2:TGID_X_EN: 1
; COMPUTE_PGM_RSRC2:TGID_Y_EN: 0
; COMPUTE_PGM_RSRC2:TGID_Z_EN: 0
; COMPUTE_PGM_RSRC2:TIDIG_COMP_CNT: 0
	.text
	.p2alignl 6, 3214868480
	.fill 48, 4, 3214868480
	.type	__hip_cuid_824cabe2d6a42912,@object ; @__hip_cuid_824cabe2d6a42912
	.section	.bss,"aw",@nobits
	.globl	__hip_cuid_824cabe2d6a42912
__hip_cuid_824cabe2d6a42912:
	.byte	0                               ; 0x0
	.size	__hip_cuid_824cabe2d6a42912, 1

	.ident	"AMD clang version 19.0.0git (https://github.com/RadeonOpenCompute/llvm-project roc-6.4.0 25133 c7fe45cf4b819c5991fe208aaa96edf142730f1d)"
	.section	".note.GNU-stack","",@progbits
	.addrsig
	.addrsig_sym __hip_cuid_824cabe2d6a42912
	.amdgpu_metadata
---
amdhsa.kernels:
  - .args:
      - .actual_access:  read_only
        .address_space:  global
        .offset:         0
        .size:           8
        .value_kind:     global_buffer
      - .offset:         8
        .size:           8
        .value_kind:     by_value
      - .actual_access:  read_only
        .address_space:  global
        .offset:         16
        .size:           8
        .value_kind:     global_buffer
      - .actual_access:  read_only
        .address_space:  global
        .offset:         24
        .size:           8
        .value_kind:     global_buffer
      - .offset:         32
        .size:           8
        .value_kind:     by_value
      - .actual_access:  read_only
        .address_space:  global
        .offset:         40
        .size:           8
        .value_kind:     global_buffer
      - .actual_access:  read_only
        .address_space:  global
        .offset:         48
        .size:           8
        .value_kind:     global_buffer
      - .offset:         56
        .size:           4
        .value_kind:     by_value
      - .actual_access:  read_only
        .address_space:  global
        .offset:         64
        .size:           8
        .value_kind:     global_buffer
      - .actual_access:  read_only
        .address_space:  global
        .offset:         72
        .size:           8
        .value_kind:     global_buffer
      - .address_space:  global
        .offset:         80
        .size:           8
        .value_kind:     global_buffer
    .group_segment_fixed_size: 0
    .kernarg_segment_align: 8
    .kernarg_segment_size: 88
    .language:       OpenCL C
    .language_version:
      - 2
      - 0
    .max_flat_workgroup_size: 91
    .name:           fft_rtc_back_len637_factors_13_7_7_wgs_91_tpt_91_halfLds_dp_ip_CI_unitstride_sbrr_dirReg
    .private_segment_fixed_size: 0
    .sgpr_count:     46
    .sgpr_spill_count: 0
    .symbol:         fft_rtc_back_len637_factors_13_7_7_wgs_91_tpt_91_halfLds_dp_ip_CI_unitstride_sbrr_dirReg.kd
    .uniform_work_group_size: 1
    .uses_dynamic_stack: false
    .vgpr_count:     147
    .vgpr_spill_count: 0
    .wavefront_size: 32
    .workgroup_processor_mode: 1
amdhsa.target:   amdgcn-amd-amdhsa--gfx1030
amdhsa.version:
  - 1
  - 2
...

	.end_amdgpu_metadata
